;; amdgpu-corpus repo=ROCm/rocFFT kind=compiled arch=gfx906 opt=O3
	.text
	.amdgcn_target "amdgcn-amd-amdhsa--gfx906"
	.amdhsa_code_object_version 6
	.protected	fft_rtc_back_len13_factors_13_wgs_64_tpt_1_half_ip_CI_sbrr_dirReg ; -- Begin function fft_rtc_back_len13_factors_13_wgs_64_tpt_1_half_ip_CI_sbrr_dirReg
	.globl	fft_rtc_back_len13_factors_13_wgs_64_tpt_1_half_ip_CI_sbrr_dirReg
	.p2align	8
	.type	fft_rtc_back_len13_factors_13_wgs_64_tpt_1_half_ip_CI_sbrr_dirReg,@function
fft_rtc_back_len13_factors_13_wgs_64_tpt_1_half_ip_CI_sbrr_dirReg: ; @fft_rtc_back_len13_factors_13_wgs_64_tpt_1_half_ip_CI_sbrr_dirReg
; %bb.0:
	s_load_dwordx2 s[10:11], s[4:5], 0x18
	s_load_dwordx2 s[12:13], s[4:5], 0x8
	;; [unrolled: 1-line block ×3, first 2 shown]
	v_lshl_or_b32 v4, s6, 6, v0
	v_mov_b32_e32 v2, 0
	s_waitcnt lgkmcnt(0)
	s_load_dwordx2 s[2:3], s[10:11], 0x0
	v_cmp_lt_u64_e64 s[0:1], s[12:13], 2
	v_mov_b32_e32 v0, 0
	v_mov_b32_e32 v5, v2
	s_and_b64 vcc, exec, s[0:1]
	v_mov_b32_e32 v1, 0
	s_cbranch_vccnz .LBB0_8
; %bb.1:
	s_load_dwordx2 s[0:1], s[4:5], 0x10
	s_add_u32 s6, s10, 8
	s_addc_u32 s7, s11, 0
	v_mov_b32_e32 v0, 0
	v_mov_b32_e32 v1, 0
	s_waitcnt lgkmcnt(0)
	s_add_u32 s14, s0, 8
	s_addc_u32 s15, s1, 0
	s_mov_b64 s[16:17], 1
.LBB0_2:                                ; =>This Inner Loop Header: Depth=1
	s_load_dwordx2 s[18:19], s[14:15], 0x0
                                        ; implicit-def: $vgpr6_vgpr7
	s_waitcnt lgkmcnt(0)
	v_or_b32_e32 v3, s19, v5
	v_cmp_ne_u64_e32 vcc, 0, v[2:3]
	s_and_saveexec_b64 s[0:1], vcc
	s_xor_b64 s[20:21], exec, s[0:1]
	s_cbranch_execz .LBB0_4
; %bb.3:                                ;   in Loop: Header=BB0_2 Depth=1
	v_cvt_f32_u32_e32 v3, s18
	v_cvt_f32_u32_e32 v6, s19
	s_sub_u32 s0, 0, s18
	s_subb_u32 s1, 0, s19
	v_mac_f32_e32 v3, 0x4f800000, v6
	v_rcp_f32_e32 v3, v3
	v_mul_f32_e32 v3, 0x5f7ffffc, v3
	v_mul_f32_e32 v6, 0x2f800000, v3
	v_trunc_f32_e32 v6, v6
	v_mac_f32_e32 v3, 0xcf800000, v6
	v_cvt_u32_f32_e32 v6, v6
	v_cvt_u32_f32_e32 v3, v3
	v_mul_lo_u32 v7, s0, v6
	v_mul_hi_u32 v8, s0, v3
	v_mul_lo_u32 v10, s1, v3
	v_mul_lo_u32 v9, s0, v3
	v_add_u32_e32 v7, v8, v7
	v_add_u32_e32 v7, v7, v10
	v_mul_hi_u32 v8, v3, v9
	v_mul_lo_u32 v10, v3, v7
	v_mul_hi_u32 v12, v3, v7
	v_mul_hi_u32 v11, v6, v9
	v_mul_lo_u32 v9, v6, v9
	v_mul_hi_u32 v13, v6, v7
	v_add_co_u32_e32 v8, vcc, v8, v10
	v_addc_co_u32_e32 v10, vcc, 0, v12, vcc
	v_mul_lo_u32 v7, v6, v7
	v_add_co_u32_e32 v8, vcc, v8, v9
	v_addc_co_u32_e32 v8, vcc, v10, v11, vcc
	v_addc_co_u32_e32 v9, vcc, 0, v13, vcc
	v_add_co_u32_e32 v7, vcc, v8, v7
	v_addc_co_u32_e32 v8, vcc, 0, v9, vcc
	v_add_co_u32_e32 v3, vcc, v3, v7
	v_addc_co_u32_e32 v6, vcc, v6, v8, vcc
	v_mul_lo_u32 v7, s0, v6
	v_mul_hi_u32 v8, s0, v3
	v_mul_lo_u32 v9, s1, v3
	v_mul_lo_u32 v10, s0, v3
	v_add_u32_e32 v7, v8, v7
	v_add_u32_e32 v7, v7, v9
	v_mul_lo_u32 v11, v3, v7
	v_mul_hi_u32 v12, v3, v10
	v_mul_hi_u32 v13, v3, v7
	;; [unrolled: 1-line block ×3, first 2 shown]
	v_mul_lo_u32 v10, v6, v10
	v_mul_hi_u32 v8, v6, v7
	v_add_co_u32_e32 v11, vcc, v12, v11
	v_addc_co_u32_e32 v12, vcc, 0, v13, vcc
	v_mul_lo_u32 v7, v6, v7
	v_add_co_u32_e32 v10, vcc, v11, v10
	v_addc_co_u32_e32 v9, vcc, v12, v9, vcc
	v_addc_co_u32_e32 v8, vcc, 0, v8, vcc
	v_add_co_u32_e32 v7, vcc, v9, v7
	v_addc_co_u32_e32 v8, vcc, 0, v8, vcc
	v_add_co_u32_e32 v3, vcc, v3, v7
	v_addc_co_u32_e32 v8, vcc, v6, v8, vcc
	v_mad_u64_u32 v[6:7], s[0:1], v4, v8, 0
	v_mul_hi_u32 v9, v4, v3
	v_add_co_u32_e32 v10, vcc, v9, v6
	v_addc_co_u32_e32 v11, vcc, 0, v7, vcc
	v_mad_u64_u32 v[6:7], s[0:1], v5, v3, 0
	v_mad_u64_u32 v[8:9], s[0:1], v5, v8, 0
	v_add_co_u32_e32 v3, vcc, v10, v6
	v_addc_co_u32_e32 v3, vcc, v11, v7, vcc
	v_addc_co_u32_e32 v6, vcc, 0, v9, vcc
	v_add_co_u32_e32 v3, vcc, v3, v8
	v_addc_co_u32_e32 v8, vcc, 0, v6, vcc
	v_mul_lo_u32 v9, s19, v3
	v_mul_lo_u32 v10, s18, v8
	v_mad_u64_u32 v[6:7], s[0:1], s18, v3, 0
	v_add3_u32 v7, v7, v10, v9
	v_sub_u32_e32 v9, v5, v7
	v_mov_b32_e32 v10, s19
	v_sub_co_u32_e32 v6, vcc, v4, v6
	v_subb_co_u32_e64 v9, s[0:1], v9, v10, vcc
	v_subrev_co_u32_e64 v10, s[0:1], s18, v6
	v_subbrev_co_u32_e64 v9, s[0:1], 0, v9, s[0:1]
	v_cmp_le_u32_e64 s[0:1], s19, v9
	v_cndmask_b32_e64 v11, 0, -1, s[0:1]
	v_cmp_le_u32_e64 s[0:1], s18, v10
	v_cndmask_b32_e64 v10, 0, -1, s[0:1]
	v_cmp_eq_u32_e64 s[0:1], s19, v9
	v_cndmask_b32_e64 v9, v11, v10, s[0:1]
	v_add_co_u32_e64 v10, s[0:1], 2, v3
	v_addc_co_u32_e64 v11, s[0:1], 0, v8, s[0:1]
	v_add_co_u32_e64 v12, s[0:1], 1, v3
	v_addc_co_u32_e64 v13, s[0:1], 0, v8, s[0:1]
	v_subb_co_u32_e32 v7, vcc, v5, v7, vcc
	v_cmp_ne_u32_e64 s[0:1], 0, v9
	v_cmp_le_u32_e32 vcc, s19, v7
	v_cndmask_b32_e64 v9, v13, v11, s[0:1]
	v_cndmask_b32_e64 v11, 0, -1, vcc
	v_cmp_le_u32_e32 vcc, s18, v6
	v_cndmask_b32_e64 v6, 0, -1, vcc
	v_cmp_eq_u32_e32 vcc, s19, v7
	v_cndmask_b32_e32 v6, v11, v6, vcc
	v_cmp_ne_u32_e32 vcc, 0, v6
	v_cndmask_b32_e64 v6, v12, v10, s[0:1]
	v_cndmask_b32_e32 v7, v8, v9, vcc
	v_cndmask_b32_e32 v6, v3, v6, vcc
.LBB0_4:                                ;   in Loop: Header=BB0_2 Depth=1
	s_andn2_saveexec_b64 s[0:1], s[20:21]
	s_cbranch_execz .LBB0_6
; %bb.5:                                ;   in Loop: Header=BB0_2 Depth=1
	v_cvt_f32_u32_e32 v3, s18
	s_sub_i32 s20, 0, s18
	v_rcp_iflag_f32_e32 v3, v3
	v_mul_f32_e32 v3, 0x4f7ffffe, v3
	v_cvt_u32_f32_e32 v3, v3
	v_mul_lo_u32 v6, s20, v3
	v_mul_hi_u32 v6, v3, v6
	v_add_u32_e32 v3, v3, v6
	v_mul_hi_u32 v3, v4, v3
	v_mul_lo_u32 v6, v3, s18
	v_add_u32_e32 v7, 1, v3
	v_sub_u32_e32 v6, v4, v6
	v_subrev_u32_e32 v8, s18, v6
	v_cmp_le_u32_e32 vcc, s18, v6
	v_cndmask_b32_e32 v6, v6, v8, vcc
	v_cndmask_b32_e32 v3, v3, v7, vcc
	v_add_u32_e32 v7, 1, v3
	v_cmp_le_u32_e32 vcc, s18, v6
	v_cndmask_b32_e32 v6, v3, v7, vcc
	v_mov_b32_e32 v7, v2
.LBB0_6:                                ;   in Loop: Header=BB0_2 Depth=1
	s_or_b64 exec, exec, s[0:1]
	v_mul_lo_u32 v3, v7, s18
	v_mul_lo_u32 v10, v6, s19
	v_mad_u64_u32 v[8:9], s[0:1], v6, s18, 0
	s_load_dwordx2 s[0:1], s[6:7], 0x0
	s_add_u32 s16, s16, 1
	v_add3_u32 v3, v9, v10, v3
	v_sub_co_u32_e32 v4, vcc, v4, v8
	v_subb_co_u32_e32 v3, vcc, v5, v3, vcc
	s_waitcnt lgkmcnt(0)
	v_mul_lo_u32 v3, s0, v3
	v_mul_lo_u32 v5, s1, v4
	v_mad_u64_u32 v[0:1], s[0:1], s0, v4, v[0:1]
	s_addc_u32 s17, s17, 0
	s_add_u32 s6, s6, 8
	v_add3_u32 v1, v5, v1, v3
	v_mov_b32_e32 v3, s12
	v_mov_b32_e32 v4, s13
	s_addc_u32 s7, s7, 0
	v_cmp_ge_u64_e32 vcc, s[16:17], v[3:4]
	s_add_u32 s14, s14, 8
	s_addc_u32 s15, s15, 0
	s_cbranch_vccnz .LBB0_9
; %bb.7:                                ;   in Loop: Header=BB0_2 Depth=1
	v_mov_b32_e32 v4, v6
	v_mov_b32_e32 v5, v7
	s_branch .LBB0_2
.LBB0_8:
	v_mov_b32_e32 v7, v5
	v_mov_b32_e32 v6, v4
.LBB0_9:
	s_lshl_b64 s[0:1], s[12:13], 3
	s_add_u32 s0, s10, s0
	s_addc_u32 s1, s11, s1
	s_load_dwordx2 s[6:7], s[0:1], 0x0
	s_load_dwordx2 s[10:11], s[4:5], 0x20
                                        ; implicit-def: $vgpr15
                                        ; implicit-def: $vgpr16
                                        ; implicit-def: $vgpr4
                                        ; implicit-def: $vgpr17
                                        ; implicit-def: $vgpr18
                                        ; implicit-def: $vgpr5
                                        ; implicit-def: $vgpr19
                                        ; implicit-def: $vgpr8
                                        ; implicit-def: $vgpr20
                                        ; implicit-def: $vgpr9
                                        ; implicit-def: $vgpr21
                                        ; implicit-def: $vgpr11
                                        ; implicit-def: $vgpr22
                                        ; implicit-def: $vgpr12
                                        ; implicit-def: $vgpr23
                                        ; implicit-def: $vgpr14
                                        ; implicit-def: $vgpr24
                                        ; implicit-def: $vgpr10
                                        ; implicit-def: $vgpr25
                                        ; implicit-def: $vgpr26
                                        ; implicit-def: $vgpr13
	s_waitcnt lgkmcnt(0)
	v_mul_lo_u32 v2, s6, v7
	v_mul_lo_u32 v3, s7, v6
	v_mad_u64_u32 v[0:1], s[0:1], s6, v6, v[0:1]
	v_cmp_gt_u64_e32 vcc, s[10:11], v[6:7]
                                        ; implicit-def: $vgpr7
                                        ; implicit-def: $vgpr6
	v_add3_u32 v1, v3, v1, v2
	v_lshlrev_b64 v[0:1], 2, v[0:1]
                                        ; implicit-def: $vgpr3
                                        ; implicit-def: $vgpr2
	s_and_saveexec_b64 s[4:5], vcc
	s_cbranch_execnz .LBB0_12
; %bb.10:
	s_or_b64 exec, exec, s[4:5]
	s_and_saveexec_b64 s[0:1], vcc
	s_cbranch_execnz .LBB0_13
.LBB0_11:
	s_endpgm
.LBB0_12:
	v_mov_b32_e32 v2, s9
	v_add_co_u32_e64 v15, s[0:1], s8, v0
	v_addc_co_u32_e64 v16, s[0:1], v2, v1, s[0:1]
	s_lshl_b64 s[0:1], s[2:3], 2
	v_mad_u64_u32 v[11:12], s[6:7], s2, 12, v[15:16]
	v_mov_b32_e32 v2, s1
	v_add_co_u32_e64 v7, s[0:1], s0, v15
	v_addc_co_u32_e64 v8, s[0:1], v16, v2, s[0:1]
	s_lshl_b64 s[0:1], s[2:3], 3
	v_mov_b32_e32 v4, s1
	v_mov_b32_e32 v2, v12
	v_add_co_u32_e64 v9, s[0:1], s0, v15
	v_mad_u64_u32 v[2:3], s[6:7], s3, 12, v[2:3]
	v_addc_co_u32_e64 v10, s[0:1], v16, v4, s[0:1]
	v_mad_u64_u32 v[17:18], s[0:1], s2, 20, v[15:16]
	v_mad_u64_u32 v[19:20], s[6:7], s2, 24, v[15:16]
	v_mov_b32_e32 v12, v2
	v_mov_b32_e32 v2, v18
	v_mad_u64_u32 v[21:22], s[6:7], s2, 28, v[15:16]
	v_mad_u64_u32 v[2:3], s[6:7], s3, 20, v[2:3]
	s_lshl_b64 s[0:1], s[2:3], 4
	v_mov_b32_e32 v3, v20
	v_mov_b32_e32 v6, s1
	v_mad_u64_u32 v[3:4], s[6:7], s3, 24, v[3:4]
	v_add_co_u32_e64 v13, s[0:1], s0, v15
	v_mad_u64_u32 v[23:24], s[6:7], s2, 36, v[15:16]
	v_mov_b32_e32 v4, v22
	v_addc_co_u32_e64 v14, s[0:1], v16, v6, s[0:1]
	v_mad_u64_u32 v[4:5], s[6:7], s3, 28, v[4:5]
	s_lshl_b64 s[0:1], s[2:3], 5
	v_mov_b32_e32 v18, v2
	v_mov_b32_e32 v2, s1
	v_add_co_u32_e64 v25, s[0:1], s0, v15
	v_addc_co_u32_e64 v26, s[0:1], v16, v2, s[0:1]
	v_mov_b32_e32 v2, v24
	v_mov_b32_e32 v20, v3
	v_mad_u64_u32 v[2:3], s[0:1], s3, 36, v[2:3]
	v_mov_b32_e32 v22, v4
	global_load_dword v3, v[7:8], off
	global_load_dword v4, v[9:10], off
	;; [unrolled: 1-line block ×4, first 2 shown]
	v_mad_u64_u32 v[27:28], s[0:1], s2, 40, v[15:16]
	v_mad_u64_u32 v[25:26], s[0:1], s2, 44, v[15:16]
	v_mad_u64_u32 v[29:30], s[0:1], s2, 48, v[15:16]
	v_mov_b32_e32 v7, v28
	v_mov_b32_e32 v24, v2
	;; [unrolled: 1-line block ×3, first 2 shown]
	v_mad_u64_u32 v[7:8], s[0:1], s3, 40, v[7:8]
	v_mov_b32_e32 v28, v7
	global_load_dword v7, v[11:12], off
	global_load_dword v8, v[17:18], off
	;; [unrolled: 1-line block ×5, first 2 shown]
	s_waitcnt vmcnt(8)
	v_mad_u64_u32 v[31:32], s[0:1], s3, 44, v[2:3]
	v_mov_b32_e32 v2, v30
	v_mad_u64_u32 v[32:33], s[0:1], s3, 48, v[2:3]
	v_mov_b32_e32 v26, v31
	s_waitcnt vmcnt(6)
	v_lshrrev_b32_e32 v18, 16, v5
	v_mov_b32_e32 v30, v32
	global_load_dword v14, v[27:28], off
	global_load_dword v12, v[25:26], off
	;; [unrolled: 1-line block ×4, first 2 shown]
	v_lshrrev_b32_e32 v15, 16, v3
	v_lshrrev_b32_e32 v16, 16, v4
	s_waitcnt vmcnt(9)
	v_lshrrev_b32_e32 v25, 16, v6
	s_waitcnt vmcnt(8)
	;; [unrolled: 2-line block ×9, first 2 shown]
	v_lshrrev_b32_e32 v21, 16, v11
	s_or_b64 exec, exec, s[4:5]
	s_and_saveexec_b64 s[0:1], vcc
	s_cbranch_execz .LBB0_11
.LBB0_13:
	v_mov_b32_e32 v27, s9
	v_add_co_u32_e32 v0, vcc, s8, v0
	v_sub_f16_e32 v28, v3, v11
	v_addc_co_u32_e32 v1, vcc, v27, v1, vcc
	s_movk_i32 s1, 0x3b15
	v_add_f16_e32 v27, v15, v21
	v_mul_f16_e32 v29, 0xb770, v28
	v_sub_f16_e32 v32, v4, v12
	s_movk_i32 s0, 0x388b
	v_fma_f16 v30, v27, s1, -v29
	v_add_f16_e32 v31, v16, v22
	v_mul_f16_e32 v33, 0xba95, v32
	s_waitcnt vmcnt(0)
	v_add_f16_sdwa v30, v30, v2 dst_sel:DWORD dst_unused:UNUSED_PAD src0_sel:DWORD src1_sel:WORD_1
	v_fma_f16 v34, v31, s0, -v33
	v_sub_f16_e32 v35, v7, v14
	v_add_f16_e32 v30, v34, v30
	s_movk_i32 s4, 0x2fb7
	v_add_f16_e32 v34, v17, v23
	v_mul_f16_e32 v36, 0xbbf1, v35
	v_fma_f16 v37, v34, s4, -v36
	v_sub_f16_e32 v38, v5, v10
	v_add_f16_e32 v30, v37, v30
	s_mov_b32 s5, 0xb5ac
	v_add_f16_e32 v37, v18, v24
	v_mul_f16_e32 v39, 0xbb7b, v38
	v_fma_f16 v40, v37, s5, -v39
	v_sub_f16_e32 v41, v8, v6
	v_add_f16_e32 v30, v40, v30
	s_mov_b32 s6, 0xb9fd
	;; [unrolled: 6-line block ×3, first 2 shown]
	v_add_f16_e32 v43, v20, v26
	v_mul_f16_e32 v45, 0xb3a8, v44
	v_fma_f16 v46, v43, s7, -v45
	v_add_f16_e32 v30, v46, v30
	v_add_f16_e32 v46, v3, v11
	v_sub_f16_e32 v47, v15, v21
	v_add_f16_sdwa v15, v15, v2 dst_sel:DWORD dst_unused:UNUSED_PAD src0_sel:DWORD src1_sel:WORD_1
	v_add_f16_e32 v3, v3, v2
	v_add_f16_e32 v15, v16, v15
	;; [unrolled: 1-line block ×3, first 2 shown]
	v_mul_f16_e32 v48, 0xb770, v47
	v_sub_f16_e32 v51, v16, v22
	v_add_f16_e32 v15, v17, v15
	v_add_f16_e32 v3, v7, v3
	v_fma_f16 v49, v46, s1, v48
	v_add_f16_e32 v50, v4, v12
	v_mul_f16_e32 v52, 0xba95, v51
	v_add_f16_e32 v15, v18, v15
	v_add_f16_e32 v3, v5, v3
	;; [unrolled: 1-line block ×3, first 2 shown]
	v_fma_f16 v53, v50, s0, v52
	v_sub_f16_e32 v54, v17, v23
	v_add_f16_e32 v15, v19, v15
	v_add_f16_e32 v3, v8, v3
	v_add_f16_e32 v49, v53, v49
	v_add_f16_e32 v53, v7, v14
	v_mul_f16_e32 v55, 0xbbf1, v54
	v_add_f16_e32 v15, v20, v15
	v_add_f16_e32 v3, v9, v3
	v_fma_f16 v56, v53, s4, v55
	v_sub_f16_e32 v57, v18, v24
	v_add_f16_e32 v15, v26, v15
	v_add_f16_e32 v3, v13, v3
	v_add_f16_e32 v49, v56, v49
	v_add_f16_e32 v56, v5, v10
	v_mul_f16_e32 v58, 0xbb7b, v57
	v_add_f16_e32 v15, v25, v15
	v_add_f16_e32 v3, v6, v3
	;; [unrolled: 9-line block ×3, first 2 shown]
	v_fma_f16 v62, v59, s6, v61
	v_sub_f16_e32 v63, v20, v26
	v_add_f16_e32 v15, v22, v15
	v_add_f16_e32 v3, v12, v3
	;; [unrolled: 1-line block ×4, first 2 shown]
	v_mul_f16_e32 v64, 0xb3a8, v63
	v_add_f16_sdwa v15, v21, v15 dst_sel:WORD_1 dst_unused:UNUSED_PAD src0_sel:DWORD src1_sel:DWORD
	v_add_f16_e32 v3, v11, v3
	v_fma_f16 v65, v62, s7, v64
	v_or_b32_e32 v3, v15, v3
	s_lshl_b64 s[8:9], s[2:3], 2
	v_add_f16_e32 v49, v65, v49
	global_store_dword v[0:1], v3, off
	v_mov_b32_e32 v4, s9
	v_add_co_u32_e32 v3, vcc, s8, v0
	v_addc_co_u32_e32 v4, vcc, v1, v4, vcc
	v_pack_b32_f16 v5, v49, v30
	v_mul_f16_e32 v7, 0xba95, v28
	global_store_dword v[3:4], v5, off
	v_fma_f16 v3, v27, s0, -v7
	v_mul_f16_e32 v8, 0xbb7b, v32
	v_add_f16_sdwa v3, v3, v2 dst_sel:DWORD dst_unused:UNUSED_PAD src0_sel:DWORD src1_sel:WORD_1
	v_fma_f16 v4, v31, s5, -v8
	v_mul_f16_e32 v9, 0xb3a8, v35
	v_add_f16_e32 v3, v4, v3
	v_fma_f16 v4, v34, s7, -v9
	v_mul_f16_e32 v10, 0x394e, v38
	v_add_f16_e32 v3, v4, v3
	;; [unrolled: 3-line block ×5, first 2 shown]
	v_fma_f16 v3, v46, s0, v14
	v_mul_f16_e32 v15, 0xbb7b, v51
	v_add_f16_e32 v3, v3, v2
	v_fma_f16 v4, v50, s5, v15
	v_mul_f16_e32 v16, 0xb3a8, v54
	v_add_f16_e32 v3, v4, v3
	;; [unrolled: 3-line block ×4, first 2 shown]
	v_fma_f16 v4, v59, s4, v18
	v_add_f16_e32 v5, v4, v3
	v_mad_u64_u32 v[3:4], s[8:9], s2, 12, v[0:1]
	v_mul_f16_e32 v19, 0x3770, v63
	v_fma_f16 v6, v62, s1, v19
	v_add_f16_e32 v20, v6, v5
	s_lshl_b64 s[8:9], s[2:3], 3
	v_mad_u64_u32 v[4:5], s[10:11], s3, 12, v[4:5]
	v_mov_b32_e32 v6, s9
	v_add_co_u32_e32 v5, vcc, s8, v0
	v_addc_co_u32_e32 v6, vcc, v1, v6, vcc
	v_pack_b32_f16 v13, v20, v13
	global_store_dword v[5:6], v13, off
	v_mul_f16_e32 v5, 0xbbf1, v28
	v_fma_f16 v6, v27, s4, -v5
	v_mul_f16_e32 v13, 0xb3a8, v32
	v_add_f16_sdwa v6, v6, v2 dst_sel:DWORD dst_unused:UNUSED_PAD src0_sel:DWORD src1_sel:WORD_1
	v_fma_f16 v20, v31, s7, -v13
	v_add_f16_e32 v6, v20, v6
	v_mul_f16_e32 v20, 0x3b7b, v35
	v_fma_f16 v21, v34, s5, -v20
	v_add_f16_e32 v6, v21, v6
	v_mul_f16_e32 v21, 0x3770, v38
	;; [unrolled: 3-line block ×5, first 2 shown]
	v_fma_f16 v25, v46, s4, v24
	v_mul_f16_e32 v26, 0xb3a8, v51
	v_add_f16_e32 v25, v25, v2
	v_fma_f16 v30, v50, s7, v26
	v_add_f16_e32 v25, v30, v25
	v_mul_f16_e32 v30, 0x3b7b, v54
	v_fma_f16 v49, v53, s5, v30
	v_add_f16_e32 v25, v49, v25
	v_mul_f16_e32 v49, 0x3770, v57
	;; [unrolled: 3-line block ×4, first 2 shown]
	v_fma_f16 v67, v62, s6, v66
	v_add_f16_e32 v25, v67, v25
	v_pack_b32_f16 v6, v25, v6
	global_store_dword v[3:4], v6, off
	v_mul_f16_e32 v6, 0xbb7b, v28
	v_fma_f16 v3, v27, s5, -v6
	v_mul_f16_e32 v25, 0x394e, v32
	v_add_f16_sdwa v3, v3, v2 dst_sel:DWORD dst_unused:UNUSED_PAD src0_sel:DWORD src1_sel:WORD_1
	v_fma_f16 v4, v31, s6, -v25
	v_mul_f16_e32 v67, 0x3770, v35
	v_add_f16_e32 v3, v4, v3
	v_fma_f16 v4, v34, s1, -v67
	v_mul_f16_e32 v68, 0xbbf1, v38
	v_add_f16_e32 v3, v4, v3
	;; [unrolled: 3-line block ×5, first 2 shown]
	v_fma_f16 v3, v46, s5, v72
	v_mul_f16_e32 v73, 0x394e, v51
	v_add_f16_e32 v3, v3, v2
	v_fma_f16 v4, v50, s6, v73
	v_mul_f16_e32 v74, 0x3770, v54
	v_add_f16_e32 v3, v4, v3
	;; [unrolled: 3-line block ×5, first 2 shown]
	v_fma_f16 v4, v62, s0, v77
	s_lshl_b64 s[8:9], s[2:3], 4
	v_add_f16_e32 v78, v4, v3
	v_mov_b32_e32 v4, s9
	v_add_co_u32_e32 v3, vcc, s8, v0
	v_addc_co_u32_e32 v4, vcc, v1, v4, vcc
	v_pack_b32_f16 v71, v78, v71
	global_store_dword v[3:4], v71, off
	v_mul_f16_e32 v3, 0xb3a8, v28
	v_fma_f16 v4, v27, s7, -v3
	v_mul_f16_e32 v71, 0x3770, v32
	v_add_f16_sdwa v4, v4, v2 dst_sel:DWORD dst_unused:UNUSED_PAD src0_sel:DWORD src1_sel:WORD_1
	v_fma_f16 v78, v31, s1, -v71
	v_add_f16_e32 v4, v78, v4
	v_mul_f16_e32 v78, 0xb94e, v35
	v_fma_f16 v79, v34, s6, -v78
	v_add_f16_e32 v4, v79, v4
	v_mul_f16_e32 v79, 0x3a95, v38
	v_fma_f16 v80, v37, s0, -v79
	v_add_f16_e32 v4, v80, v4
	v_mul_f16_e32 v80, 0xbb7b, v41
	v_fma_f16 v81, v40, s5, -v80
	v_add_f16_e32 v4, v81, v4
	v_mul_f16_e32 v81, 0x3bf1, v44
	v_fma_f16 v82, v43, s4, -v81
	v_fma_f16 v3, v27, s7, v3
	v_add_f16_e32 v82, v82, v4
	v_mul_f16_e32 v4, 0xb3a8, v47
	v_add_f16_sdwa v3, v3, v2 dst_sel:DWORD dst_unused:UNUSED_PAD src0_sel:DWORD src1_sel:WORD_1
	v_fma_f16 v71, v31, s1, v71
	v_fma_f16 v83, v46, s7, v4
	v_mul_f16_e32 v84, 0x3770, v51
	v_add_f16_e32 v3, v71, v3
	v_fma_f16 v71, v34, s6, v78
	v_add_f16_e32 v83, v83, v2
	v_fma_f16 v85, v50, s1, v84
	;; [unrolled: 2-line block ×3, first 2 shown]
	v_add_f16_e32 v83, v85, v83
	v_mul_f16_e32 v85, 0xb94e, v54
	v_add_f16_e32 v3, v71, v3
	v_fma_f16 v71, v40, s5, v80
	v_fma_f16 v86, v53, s6, v85
	v_add_f16_e32 v3, v71, v3
	v_fma_f16 v71, v43, s4, v81
	v_add_f16_e32 v83, v86, v83
	v_mul_f16_e32 v86, 0x3a95, v57
	v_add_f16_e32 v71, v71, v3
	v_fma_f16 v3, v46, s7, -v4
	v_fma_f16 v87, v56, s0, v86
	v_add_f16_e32 v3, v3, v2
	v_fma_f16 v4, v50, s1, -v84
	v_add_f16_e32 v83, v87, v83
	v_mul_f16_e32 v87, 0xbb7b, v60
	v_add_f16_e32 v3, v4, v3
	v_fma_f16 v4, v53, s6, -v85
	v_fma_f16 v88, v59, s5, v87
	v_add_f16_e32 v3, v4, v3
	v_fma_f16 v4, v56, s0, -v86
	v_add_f16_e32 v83, v88, v83
	v_mul_f16_e32 v88, 0x3bf1, v63
	v_add_f16_e32 v3, v4, v3
	v_fma_f16 v4, v59, s5, -v87
	v_mul_f16_e32 v28, 0xb94e, v28
	v_add_f16_e32 v3, v4, v3
	v_fma_f16 v4, v62, s4, -v88
	v_mul_f16_e32 v32, 0x3bf1, v32
	v_add_f16_e32 v78, v4, v3
	v_fma_f16 v3, v27, s6, v28
	v_mul_f16_e32 v35, 0xba95, v35
	v_add_f16_sdwa v3, v3, v2 dst_sel:DWORD dst_unused:UNUSED_PAD src0_sel:DWORD src1_sel:WORD_1
	v_fma_f16 v4, v31, s4, v32
	v_mul_f16_e32 v38, 0x33a8, v38
	v_add_f16_e32 v3, v4, v3
	v_fma_f16 v4, v34, s0, v35
	v_mul_f16_e32 v41, 0x3770, v41
	v_add_f16_e32 v3, v4, v3
	v_fma_f16 v4, v37, s7, v38
	v_mul_f16_e32 v44, 0xbb7b, v44
	v_add_f16_e32 v3, v4, v3
	v_fma_f16 v4, v40, s1, v41
	v_fma_f16 v89, v62, s4, v88
	v_mul_f16_e32 v47, 0xb94e, v47
	v_add_f16_e32 v3, v4, v3
	v_fma_f16 v4, v43, s5, v44
	v_add_f16_e32 v83, v89, v83
	v_fma_f16 v89, v27, s6, -v28
	v_mul_f16_e32 v51, 0x3bf1, v51
	v_add_f16_e32 v28, v4, v3
	v_fma_f16 v3, v46, s6, -v47
	v_mul_f16_e32 v54, 0xba95, v54
	;; [unrolled: 3-line block ×5, first 2 shown]
	v_add_f16_e32 v3, v4, v3
	v_fma_f16 v4, v59, s1, -v60
	v_add_f16_e32 v3, v4, v3
	v_fma_f16 v4, v62, s5, -v63
	v_fma_f16 v90, v31, s4, -v32
	v_add_f16_e32 v32, v4, v3
	v_fma_f16 v3, v27, s5, v6
	v_add_f16_sdwa v3, v3, v2 dst_sel:DWORD dst_unused:UNUSED_PAD src0_sel:DWORD src1_sel:WORD_1
	v_fma_f16 v4, v31, s6, v25
	v_add_f16_e32 v3, v4, v3
	v_fma_f16 v4, v34, s1, v67
	v_add_f16_e32 v3, v4, v3
	;; [unrolled: 2-line block ×5, first 2 shown]
	v_fma_f16 v3, v46, s5, -v72
	v_add_f16_e32 v3, v3, v2
	v_fma_f16 v4, v50, s6, -v73
	v_add_f16_e32 v3, v4, v3
	;; [unrolled: 2-line block ×4, first 2 shown]
	v_fma_f16 v4, v59, s7, -v76
	v_add_f16_sdwa v89, v89, v2 dst_sel:DWORD dst_unused:UNUSED_PAD src0_sel:DWORD src1_sel:WORD_1
	v_add_f16_e32 v3, v4, v3
	v_fma_f16 v4, v62, s0, -v77
	v_add_f16_e32 v89, v90, v89
	v_fma_f16 v90, v34, s0, -v35
	v_add_f16_e32 v35, v4, v3
	v_fma_f16 v3, v27, s4, v5
	v_add_f16_sdwa v3, v3, v2 dst_sel:DWORD dst_unused:UNUSED_PAD src0_sel:DWORD src1_sel:WORD_1
	v_fma_f16 v4, v31, s7, v13
	v_add_f16_e32 v3, v4, v3
	v_fma_f16 v4, v34, s5, v20
	v_add_f16_e32 v3, v4, v3
	;; [unrolled: 2-line block ×5, first 2 shown]
	v_fma_f16 v3, v46, s4, -v24
	v_add_f16_e32 v3, v3, v2
	v_fma_f16 v4, v50, s7, -v26
	v_add_f16_e32 v3, v4, v3
	;; [unrolled: 2-line block ×6, first 2 shown]
	v_fma_f16 v3, v27, s0, v7
	v_add_f16_sdwa v3, v3, v2 dst_sel:DWORD dst_unused:UNUSED_PAD src0_sel:DWORD src1_sel:WORD_1
	v_fma_f16 v4, v31, s5, v8
	v_add_f16_e32 v3, v4, v3
	v_fma_f16 v4, v34, s7, v9
	v_add_f16_e32 v3, v4, v3
	;; [unrolled: 2-line block ×5, first 2 shown]
	v_fma_f16 v3, v46, s0, -v14
	v_add_f16_e32 v3, v3, v2
	v_fma_f16 v4, v50, s5, -v15
	v_add_f16_e32 v3, v4, v3
	;; [unrolled: 2-line block ×6, first 2 shown]
	v_fma_f16 v3, v27, s1, v29
	v_fma_f16 v4, v31, s0, v33
	v_add_f16_sdwa v3, v3, v2 dst_sel:DWORD dst_unused:UNUSED_PAD src0_sel:DWORD src1_sel:WORD_1
	v_add_f16_e32 v89, v90, v89
	v_fma_f16 v90, v37, s7, -v38
	v_add_f16_e32 v3, v4, v3
	v_fma_f16 v4, v34, s4, v36
	v_add_f16_e32 v89, v90, v89
	v_fma_f16 v90, v40, s1, -v41
	v_add_f16_e32 v3, v4, v3
	v_fma_f16 v4, v37, s5, v39
	;; [unrolled: 4-line block ×3, first 2 shown]
	v_add_f16_e32 v89, v90, v89
	v_fma_f16 v90, v46, s6, v47
	v_add_f16_e32 v3, v4, v3
	v_fma_f16 v4, v43, s7, v45
	;; [unrolled: 2-line block ×3, first 2 shown]
	v_add_f16_e32 v10, v4, v3
	v_fma_f16 v3, v46, s1, -v48
	v_add_f16_e32 v90, v91, v90
	v_fma_f16 v91, v53, s0, v54
	v_add_f16_e32 v2, v3, v2
	v_fma_f16 v3, v50, s0, -v52
	v_add_f16_e32 v90, v91, v90
	v_fma_f16 v91, v56, s7, v57
	;; [unrolled: 4-line block ×3, first 2 shown]
	v_add_f16_e32 v4, v3, v2
	v_mad_u64_u32 v[2:3], s[0:1], s2, 20, v[0:1]
	v_fma_f16 v5, v56, s5, -v58
	v_add_f16_e32 v5, v5, v4
	v_mad_u64_u32 v[3:4], s[0:1], s3, 20, v[3:4]
	v_add_f16_e32 v90, v91, v90
	v_fma_f16 v91, v62, s5, v63
	v_fma_f16 v6, v59, s6, -v61
	v_add_f16_e32 v90, v91, v90
	v_add_f16_e32 v4, v6, v5
	v_fma_f16 v5, v62, s7, -v64
	v_add_f16_e32 v11, v5, v4
	v_pack_b32_f16 v6, v90, v89
	v_mad_u64_u32 v[4:5], s[0:1], s2, 24, v[0:1]
	global_store_dword v[2:3], v6, off
	v_mad_u64_u32 v[2:3], s[0:1], s2, 28, v[0:1]
	v_mad_u64_u32 v[5:6], s[0:1], s3, 24, v[5:6]
	;; [unrolled: 1-line block ×3, first 2 shown]
	v_pack_b32_f16 v3, v83, v82
	global_store_dword v[4:5], v3, off
	v_mov_b32_e32 v3, v6
	v_pack_b32_f16 v4, v78, v71
	s_lshl_b64 s[0:1], s[2:3], 5
	global_store_dword v[2:3], v4, off
	v_mov_b32_e32 v3, s1
	v_add_co_u32_e32 v2, vcc, s0, v0
	v_mad_u64_u32 v[4:5], s[0:1], s2, 36, v[0:1]
	v_addc_co_u32_e32 v3, vcc, v1, v3, vcc
	v_pack_b32_f16 v6, v32, v28
	global_store_dword v[2:3], v6, off
	v_mad_u64_u32 v[2:3], s[0:1], s2, 40, v[0:1]
	v_mad_u64_u32 v[5:6], s[0:1], s3, 36, v[5:6]
	;; [unrolled: 1-line block ×3, first 2 shown]
	v_pack_b32_f16 v3, v35, v25
	global_store_dword v[4:5], v3, off
	v_mad_u64_u32 v[4:5], s[0:1], s2, 44, v[0:1]
	v_mov_b32_e32 v3, v6
	v_pack_b32_f16 v6, v20, v13
	global_store_dword v[2:3], v6, off
	v_mov_b32_e32 v2, v5
	v_mad_u64_u32 v[0:1], s[0:1], s2, 48, v[0:1]
	v_mad_u64_u32 v[2:3], s[0:1], s3, 44, v[2:3]
	;; [unrolled: 1-line block ×3, first 2 shown]
	v_mov_b32_e32 v5, v2
	v_pack_b32_f16 v1, v9, v8
	global_store_dword v[4:5], v1, off
	v_mov_b32_e32 v1, v6
	v_pack_b32_f16 v2, v11, v10
	global_store_dword v[0:1], v2, off
	s_endpgm
	.section	.rodata,"a",@progbits
	.p2align	6, 0x0
	.amdhsa_kernel fft_rtc_back_len13_factors_13_wgs_64_tpt_1_half_ip_CI_sbrr_dirReg
		.amdhsa_group_segment_fixed_size 0
		.amdhsa_private_segment_fixed_size 0
		.amdhsa_kernarg_size 88
		.amdhsa_user_sgpr_count 6
		.amdhsa_user_sgpr_private_segment_buffer 1
		.amdhsa_user_sgpr_dispatch_ptr 0
		.amdhsa_user_sgpr_queue_ptr 0
		.amdhsa_user_sgpr_kernarg_segment_ptr 1
		.amdhsa_user_sgpr_dispatch_id 0
		.amdhsa_user_sgpr_flat_scratch_init 0
		.amdhsa_user_sgpr_private_segment_size 0
		.amdhsa_uses_dynamic_stack 0
		.amdhsa_system_sgpr_private_segment_wavefront_offset 0
		.amdhsa_system_sgpr_workgroup_id_x 1
		.amdhsa_system_sgpr_workgroup_id_y 0
		.amdhsa_system_sgpr_workgroup_id_z 0
		.amdhsa_system_sgpr_workgroup_info 0
		.amdhsa_system_vgpr_workitem_id 0
		.amdhsa_next_free_vgpr 92
		.amdhsa_next_free_sgpr 22
		.amdhsa_reserve_vcc 1
		.amdhsa_reserve_flat_scratch 0
		.amdhsa_float_round_mode_32 0
		.amdhsa_float_round_mode_16_64 0
		.amdhsa_float_denorm_mode_32 3
		.amdhsa_float_denorm_mode_16_64 3
		.amdhsa_dx10_clamp 1
		.amdhsa_ieee_mode 1
		.amdhsa_fp16_overflow 0
		.amdhsa_exception_fp_ieee_invalid_op 0
		.amdhsa_exception_fp_denorm_src 0
		.amdhsa_exception_fp_ieee_div_zero 0
		.amdhsa_exception_fp_ieee_overflow 0
		.amdhsa_exception_fp_ieee_underflow 0
		.amdhsa_exception_fp_ieee_inexact 0
		.amdhsa_exception_int_div_zero 0
	.end_amdhsa_kernel
	.text
.Lfunc_end0:
	.size	fft_rtc_back_len13_factors_13_wgs_64_tpt_1_half_ip_CI_sbrr_dirReg, .Lfunc_end0-fft_rtc_back_len13_factors_13_wgs_64_tpt_1_half_ip_CI_sbrr_dirReg
                                        ; -- End function
	.section	.AMDGPU.csdata,"",@progbits
; Kernel info:
; codeLenInByte = 4652
; NumSgprs: 26
; NumVgprs: 92
; ScratchSize: 0
; MemoryBound: 0
; FloatMode: 240
; IeeeMode: 1
; LDSByteSize: 0 bytes/workgroup (compile time only)
; SGPRBlocks: 3
; VGPRBlocks: 22
; NumSGPRsForWavesPerEU: 26
; NumVGPRsForWavesPerEU: 92
; Occupancy: 2
; WaveLimiterHint : 1
; COMPUTE_PGM_RSRC2:SCRATCH_EN: 0
; COMPUTE_PGM_RSRC2:USER_SGPR: 6
; COMPUTE_PGM_RSRC2:TRAP_HANDLER: 0
; COMPUTE_PGM_RSRC2:TGID_X_EN: 1
; COMPUTE_PGM_RSRC2:TGID_Y_EN: 0
; COMPUTE_PGM_RSRC2:TGID_Z_EN: 0
; COMPUTE_PGM_RSRC2:TIDIG_COMP_CNT: 0
	.type	__hip_cuid_a77797c5ec9259a7,@object ; @__hip_cuid_a77797c5ec9259a7
	.section	.bss,"aw",@nobits
	.globl	__hip_cuid_a77797c5ec9259a7
__hip_cuid_a77797c5ec9259a7:
	.byte	0                               ; 0x0
	.size	__hip_cuid_a77797c5ec9259a7, 1

	.ident	"AMD clang version 19.0.0git (https://github.com/RadeonOpenCompute/llvm-project roc-6.4.0 25133 c7fe45cf4b819c5991fe208aaa96edf142730f1d)"
	.section	".note.GNU-stack","",@progbits
	.addrsig
	.addrsig_sym __hip_cuid_a77797c5ec9259a7
	.amdgpu_metadata
---
amdhsa.kernels:
  - .args:
      - .actual_access:  read_only
        .address_space:  global
        .offset:         0
        .size:           8
        .value_kind:     global_buffer
      - .offset:         8
        .size:           8
        .value_kind:     by_value
      - .actual_access:  read_only
        .address_space:  global
        .offset:         16
        .size:           8
        .value_kind:     global_buffer
      - .actual_access:  read_only
        .address_space:  global
        .offset:         24
        .size:           8
        .value_kind:     global_buffer
      - .offset:         32
        .size:           8
        .value_kind:     by_value
      - .actual_access:  read_only
        .address_space:  global
        .offset:         40
        .size:           8
        .value_kind:     global_buffer
      - .actual_access:  read_only
        .address_space:  global
        .offset:         48
        .size:           8
        .value_kind:     global_buffer
      - .offset:         56
        .size:           4
        .value_kind:     by_value
      - .actual_access:  read_only
        .address_space:  global
        .offset:         64
        .size:           8
        .value_kind:     global_buffer
      - .actual_access:  read_only
        .address_space:  global
        .offset:         72
        .size:           8
        .value_kind:     global_buffer
      - .address_space:  global
        .offset:         80
        .size:           8
        .value_kind:     global_buffer
    .group_segment_fixed_size: 0
    .kernarg_segment_align: 8
    .kernarg_segment_size: 88
    .language:       OpenCL C
    .language_version:
      - 2
      - 0
    .max_flat_workgroup_size: 64
    .name:           fft_rtc_back_len13_factors_13_wgs_64_tpt_1_half_ip_CI_sbrr_dirReg
    .private_segment_fixed_size: 0
    .sgpr_count:     26
    .sgpr_spill_count: 0
    .symbol:         fft_rtc_back_len13_factors_13_wgs_64_tpt_1_half_ip_CI_sbrr_dirReg.kd
    .uniform_work_group_size: 1
    .uses_dynamic_stack: false
    .vgpr_count:     92
    .vgpr_spill_count: 0
    .wavefront_size: 64
amdhsa.target:   amdgcn-amd-amdhsa--gfx906
amdhsa.version:
  - 1
  - 2
...

	.end_amdgpu_metadata
